;; amdgpu-corpus repo=ROCm/rocFFT kind=compiled arch=gfx906 opt=O3
	.text
	.amdgcn_target "amdgcn-amd-amdhsa--gfx906"
	.amdhsa_code_object_version 6
	.protected	fft_rtc_fwd_len192_factors_8_6_4_wgs_480_tpt_48_half_op_CI_CI_sbcc_twdbase8_3step_dirReg ; -- Begin function fft_rtc_fwd_len192_factors_8_6_4_wgs_480_tpt_48_half_op_CI_CI_sbcc_twdbase8_3step_dirReg
	.globl	fft_rtc_fwd_len192_factors_8_6_4_wgs_480_tpt_48_half_op_CI_CI_sbcc_twdbase8_3step_dirReg
	.p2align	8
	.type	fft_rtc_fwd_len192_factors_8_6_4_wgs_480_tpt_48_half_op_CI_CI_sbcc_twdbase8_3step_dirReg,@function
fft_rtc_fwd_len192_factors_8_6_4_wgs_480_tpt_48_half_op_CI_CI_sbcc_twdbase8_3step_dirReg: ; @fft_rtc_fwd_len192_factors_8_6_4_wgs_480_tpt_48_half_op_CI_CI_sbcc_twdbase8_3step_dirReg
; %bb.0:
	s_load_dwordx4 s[0:3], s[4:5], 0x18
	s_load_dwordx2 s[34:35], s[4:5], 0x28
	s_mov_b32 s7, 0
	s_mov_b64 s[26:27], 0
	s_waitcnt lgkmcnt(0)
	s_load_dwordx2 s[30:31], s[0:1], 0x8
	s_waitcnt lgkmcnt(0)
	s_add_u32 s8, s30, -1
	s_addc_u32 s9, s31, -1
	s_add_u32 s10, 0, 0x99986000
	s_addc_u32 s11, 0, 0x59
	s_mul_hi_u32 s13, s10, -10
	s_add_i32 s11, s11, 0x19999940
	s_sub_i32 s13, s13, s10
	s_mul_i32 s16, s11, -10
	s_mul_i32 s12, s10, -10
	s_add_i32 s13, s13, s16
	s_mul_hi_u32 s14, s11, s12
	s_mul_i32 s15, s11, s12
	s_mul_i32 s17, s10, s13
	s_mul_hi_u32 s12, s10, s12
	s_mul_hi_u32 s16, s10, s13
	s_add_u32 s12, s12, s17
	s_addc_u32 s16, 0, s16
	s_add_u32 s12, s12, s15
	s_mul_hi_u32 s17, s11, s13
	s_addc_u32 s12, s16, s14
	s_addc_u32 s14, s17, 0
	s_mul_i32 s13, s11, s13
	s_add_u32 s12, s12, s13
	v_mov_b32_e32 v1, s12
	s_addc_u32 s13, 0, s14
	v_add_co_u32_e32 v1, vcc, s10, v1
	s_cmp_lg_u64 vcc, 0
	s_addc_u32 s10, s11, s13
	v_readfirstlane_b32 s13, v1
	s_mul_i32 s12, s8, s10
	s_mul_hi_u32 s14, s8, s13
	s_mul_hi_u32 s11, s8, s10
	s_add_u32 s12, s14, s12
	s_addc_u32 s11, 0, s11
	s_mul_hi_u32 s15, s9, s13
	s_mul_i32 s13, s9, s13
	s_add_u32 s12, s12, s13
	s_mul_hi_u32 s14, s9, s10
	s_addc_u32 s11, s11, s15
	s_addc_u32 s12, s14, 0
	s_mul_i32 s10, s9, s10
	s_add_u32 s10, s11, s10
	s_addc_u32 s11, 0, s12
	s_add_u32 s12, s10, 1
	s_addc_u32 s13, s11, 0
	s_add_u32 s14, s10, 2
	s_mul_i32 s16, s11, 10
	s_mul_hi_u32 s17, s10, 10
	s_addc_u32 s15, s11, 0
	s_add_i32 s17, s17, s16
	s_mul_i32 s16, s10, 10
	v_mov_b32_e32 v1, s16
	v_sub_co_u32_e32 v1, vcc, s8, v1
	s_cmp_lg_u64 vcc, 0
	s_subb_u32 s8, s9, s17
	v_subrev_co_u32_e32 v2, vcc, 10, v1
	s_cmp_lg_u64 vcc, 0
	s_subb_u32 s9, s8, 0
	v_readfirstlane_b32 s16, v2
	s_cmp_gt_u32 s16, 9
	s_cselect_b32 s16, -1, 0
	s_cmp_eq_u32 s9, 0
	s_cselect_b32 s9, s16, -1
	s_cmp_lg_u32 s9, 0
	s_cselect_b32 s9, s14, s12
	s_cselect_b32 s12, s15, s13
	v_readfirstlane_b32 s13, v1
	s_cmp_gt_u32 s13, 9
	s_cselect_b32 s13, -1, 0
	s_cmp_eq_u32 s8, 0
	s_cselect_b32 s8, s13, -1
	s_cmp_lg_u32 s8, 0
	s_cselect_b32 s9, s9, s10
	s_cselect_b32 s8, s12, s11
	s_add_u32 s36, s9, 1
	s_addc_u32 s37, s8, 0
	v_mov_b32_e32 v1, s36
	v_mov_b32_e32 v2, s37
	v_cmp_lt_u64_e32 vcc, s[6:7], v[1:2]
	s_cbranch_vccnz .LBB0_2
; %bb.1:
	v_cvt_f32_u32_e32 v1, s36
	s_sub_i32 s8, 0, s36
	s_mov_b32 s27, s7
	v_rcp_iflag_f32_e32 v1, v1
	v_mul_f32_e32 v1, 0x4f7ffffe, v1
	v_cvt_u32_f32_e32 v1, v1
	v_readfirstlane_b32 s9, v1
	s_mul_i32 s8, s8, s9
	s_mul_hi_u32 s8, s9, s8
	s_add_i32 s9, s9, s8
	s_mul_hi_u32 s8, s6, s9
	s_mul_i32 s10, s8, s36
	s_sub_i32 s10, s6, s10
	s_add_i32 s9, s8, 1
	s_sub_i32 s11, s10, s36
	s_cmp_ge_u32 s10, s36
	s_cselect_b32 s8, s9, s8
	s_cselect_b32 s10, s11, s10
	s_add_i32 s9, s8, 1
	s_cmp_ge_u32 s10, s36
	s_cselect_b32 s26, s9, s8
.LBB0_2:
	s_load_dwordx4 s[12:15], s[4:5], 0x60
	s_load_dwordx4 s[20:23], s[2:3], 0x0
	;; [unrolled: 1-line block ×3, first 2 shown]
	s_load_dwordx2 s[28:29], s[4:5], 0x0
	s_load_dwordx4 s[16:19], s[4:5], 0x8
	s_mul_i32 s4, s26, s37
	s_mul_hi_u32 s5, s26, s36
	s_add_i32 s5, s5, s4
	s_mul_i32 s4, s26, s36
	s_sub_u32 s50, s6, s4
	s_subb_u32 s4, 0, s5
	s_mul_i32 s4, s4, 10
	s_mul_hi_u32 s33, s50, 10
	s_add_i32 s33, s33, s4
	s_mul_i32 s50, s50, 10
	s_waitcnt lgkmcnt(0)
	s_mul_i32 s4, s22, s33
	s_mul_hi_u32 s5, s22, s50
	s_add_i32 s4, s5, s4
	s_mul_i32 s5, s23, s50
	s_add_i32 s51, s4, s5
	s_mul_i32 s4, s10, s33
	s_mul_hi_u32 s5, s10, s50
	s_add_i32 s4, s5, s4
	s_mul_i32 s5, s11, s50
	s_add_i32 s25, s4, s5
	v_cmp_lt_u64_e64 s[4:5], s[18:19], 3
	s_mul_i32 s52, s22, s50
	s_mul_i32 s24, s10, s50
	s_and_b64 vcc, exec, s[4:5]
	s_cbranch_vccnz .LBB0_12
; %bb.3:
	s_add_u32 s4, s34, 16
	s_addc_u32 s5, s35, 0
	s_add_u32 s38, s2, 16
	s_addc_u32 s39, s3, 0
	s_add_u32 s40, s0, 16
	v_mov_b32_e32 v1, s18
	s_addc_u32 s41, s1, 0
	s_mov_b64 s[42:43], 2
	s_mov_b32 s44, 0
	v_mov_b32_e32 v2, s19
.LBB0_4:                                ; =>This Inner Loop Header: Depth=1
	s_load_dwordx2 s[46:47], s[40:41], 0x0
	s_waitcnt lgkmcnt(0)
	s_or_b64 s[0:1], s[26:27], s[46:47]
	s_mov_b32 s45, s1
	s_cmp_lg_u64 s[44:45], 0
	s_cbranch_scc0 .LBB0_9
; %bb.5:                                ;   in Loop: Header=BB0_4 Depth=1
	v_cvt_f32_u32_e32 v3, s46
	v_cvt_f32_u32_e32 v4, s47
	s_sub_u32 s0, 0, s46
	s_subb_u32 s1, 0, s47
	v_mac_f32_e32 v3, 0x4f800000, v4
	v_rcp_f32_e32 v3, v3
	v_mul_f32_e32 v3, 0x5f7ffffc, v3
	v_mul_f32_e32 v4, 0x2f800000, v3
	v_trunc_f32_e32 v4, v4
	v_mac_f32_e32 v3, 0xcf800000, v4
	v_cvt_u32_f32_e32 v4, v4
	v_cvt_u32_f32_e32 v3, v3
	v_readfirstlane_b32 s45, v4
	v_readfirstlane_b32 s48, v3
	s_mul_i32 s49, s0, s45
	s_mul_hi_u32 s54, s0, s48
	s_mul_i32 s53, s1, s48
	s_add_i32 s49, s54, s49
	s_mul_i32 s55, s0, s48
	s_add_i32 s49, s49, s53
	s_mul_hi_u32 s53, s48, s49
	s_mul_i32 s54, s48, s49
	s_mul_hi_u32 s48, s48, s55
	s_add_u32 s48, s48, s54
	s_addc_u32 s53, 0, s53
	s_mul_hi_u32 s56, s45, s55
	s_mul_i32 s55, s45, s55
	s_add_u32 s48, s48, s55
	s_mul_hi_u32 s54, s45, s49
	s_addc_u32 s48, s53, s56
	s_addc_u32 s53, s54, 0
	s_mul_i32 s49, s45, s49
	s_add_u32 s48, s48, s49
	s_addc_u32 s49, 0, s53
	v_add_co_u32_e32 v3, vcc, s48, v3
	s_cmp_lg_u64 vcc, 0
	s_addc_u32 s45, s45, s49
	v_readfirstlane_b32 s49, v3
	s_mul_i32 s48, s0, s45
	s_mul_hi_u32 s53, s0, s49
	s_add_i32 s48, s53, s48
	s_mul_i32 s1, s1, s49
	s_add_i32 s48, s48, s1
	s_mul_i32 s0, s0, s49
	s_mul_hi_u32 s53, s45, s0
	s_mul_i32 s54, s45, s0
	s_mul_i32 s56, s49, s48
	s_mul_hi_u32 s0, s49, s0
	s_mul_hi_u32 s55, s49, s48
	s_add_u32 s0, s0, s56
	s_addc_u32 s49, 0, s55
	s_add_u32 s0, s0, s54
	s_mul_hi_u32 s1, s45, s48
	s_addc_u32 s0, s49, s53
	s_addc_u32 s1, s1, 0
	s_mul_i32 s48, s45, s48
	s_add_u32 s0, s0, s48
	s_addc_u32 s1, 0, s1
	v_add_co_u32_e32 v3, vcc, s0, v3
	s_cmp_lg_u64 vcc, 0
	s_addc_u32 s0, s45, s1
	v_readfirstlane_b32 s48, v3
	s_mul_i32 s45, s26, s0
	s_mul_hi_u32 s49, s26, s48
	s_mul_hi_u32 s1, s26, s0
	s_add_u32 s45, s49, s45
	s_addc_u32 s1, 0, s1
	s_mul_hi_u32 s53, s27, s48
	s_mul_i32 s48, s27, s48
	s_add_u32 s45, s45, s48
	s_mul_hi_u32 s49, s27, s0
	s_addc_u32 s1, s1, s53
	s_addc_u32 s45, s49, 0
	s_mul_i32 s0, s27, s0
	s_add_u32 s48, s1, s0
	s_addc_u32 s45, 0, s45
	s_mul_i32 s0, s46, s45
	s_mul_hi_u32 s1, s46, s48
	s_add_i32 s0, s1, s0
	s_mul_i32 s1, s47, s48
	s_add_i32 s49, s0, s1
	s_mul_i32 s1, s46, s48
	v_mov_b32_e32 v3, s1
	s_sub_i32 s0, s27, s49
	v_sub_co_u32_e32 v3, vcc, s26, v3
	s_cmp_lg_u64 vcc, 0
	s_subb_u32 s53, s0, s47
	v_subrev_co_u32_e64 v4, s[0:1], s46, v3
	s_cmp_lg_u64 s[0:1], 0
	s_subb_u32 s0, s53, 0
	s_cmp_ge_u32 s0, s47
	v_readfirstlane_b32 s53, v4
	s_cselect_b32 s1, -1, 0
	s_cmp_ge_u32 s53, s46
	s_cselect_b32 s53, -1, 0
	s_cmp_eq_u32 s0, s47
	s_cselect_b32 s0, s53, s1
	s_add_u32 s1, s48, 1
	s_addc_u32 s53, s45, 0
	s_add_u32 s54, s48, 2
	s_addc_u32 s55, s45, 0
	s_cmp_lg_u32 s0, 0
	s_cselect_b32 s0, s54, s1
	s_cselect_b32 s1, s55, s53
	s_cmp_lg_u64 vcc, 0
	s_subb_u32 s49, s27, s49
	s_cmp_ge_u32 s49, s47
	v_readfirstlane_b32 s54, v3
	s_cselect_b32 s53, -1, 0
	s_cmp_ge_u32 s54, s46
	s_cselect_b32 s54, -1, 0
	s_cmp_eq_u32 s49, s47
	s_cselect_b32 s49, s54, s53
	s_cmp_lg_u32 s49, 0
	s_cselect_b32 s1, s1, s45
	s_cselect_b32 s0, s0, s48
	s_cbranch_execnz .LBB0_7
.LBB0_6:                                ;   in Loop: Header=BB0_4 Depth=1
	v_cvt_f32_u32_e32 v3, s46
	s_sub_i32 s0, 0, s46
	v_rcp_iflag_f32_e32 v3, v3
	v_mul_f32_e32 v3, 0x4f7ffffe, v3
	v_cvt_u32_f32_e32 v3, v3
	v_readfirstlane_b32 s1, v3
	s_mul_i32 s0, s0, s1
	s_mul_hi_u32 s0, s1, s0
	s_add_i32 s1, s1, s0
	s_mul_hi_u32 s0, s26, s1
	s_mul_i32 s45, s0, s46
	s_sub_i32 s45, s26, s45
	s_add_i32 s1, s0, 1
	s_sub_i32 s48, s45, s46
	s_cmp_ge_u32 s45, s46
	s_cselect_b32 s0, s1, s0
	s_cselect_b32 s45, s48, s45
	s_add_i32 s1, s0, 1
	s_cmp_ge_u32 s45, s46
	s_cselect_b32 s0, s1, s0
	s_mov_b32 s1, s44
.LBB0_7:                                ;   in Loop: Header=BB0_4 Depth=1
	s_mul_i32 s37, s46, s37
	s_mul_hi_u32 s45, s46, s36
	s_add_i32 s37, s45, s37
	s_mul_i32 s45, s47, s36
	s_add_i32 s37, s37, s45
	s_mul_i32 s45, s0, s47
	s_mul_hi_u32 s47, s0, s46
	s_load_dwordx2 s[48:49], s[38:39], 0x0
	s_add_i32 s45, s47, s45
	s_mul_i32 s47, s1, s46
	s_mul_i32 s36, s46, s36
	s_add_i32 s45, s45, s47
	s_mul_i32 s46, s0, s46
	s_sub_u32 s46, s26, s46
	s_subb_u32 s45, s27, s45
	s_waitcnt lgkmcnt(0)
	s_mul_i32 s26, s48, s45
	s_mul_hi_u32 s27, s48, s46
	s_add_i32 s47, s27, s26
	s_load_dwordx2 s[26:27], s[4:5], 0x0
	s_mul_i32 s49, s49, s46
	s_add_i32 s47, s47, s49
	s_mul_i32 s48, s48, s46
	s_add_u32 s52, s48, s52
	s_addc_u32 s51, s47, s51
	s_waitcnt lgkmcnt(0)
	s_mul_i32 s45, s26, s45
	s_mul_hi_u32 s47, s26, s46
	s_add_i32 s45, s47, s45
	s_mul_i32 s27, s27, s46
	s_add_i32 s45, s45, s27
	s_mul_i32 s26, s26, s46
	s_add_u32 s24, s26, s24
	s_addc_u32 s25, s45, s25
	s_add_u32 s42, s42, 1
	s_addc_u32 s43, s43, 0
	;; [unrolled: 2-line block ×4, first 2 shown]
	v_cmp_ge_u64_e32 vcc, s[42:43], v[1:2]
	s_add_u32 s40, s40, 8
	s_addc_u32 s41, s41, 0
	s_cbranch_vccnz .LBB0_10
; %bb.8:                                ;   in Loop: Header=BB0_4 Depth=1
	s_mov_b64 s[26:27], s[0:1]
	s_branch .LBB0_4
.LBB0_9:                                ;   in Loop: Header=BB0_4 Depth=1
                                        ; implicit-def: $sgpr0_sgpr1
	s_branch .LBB0_6
.LBB0_10:
	v_mov_b32_e32 v1, s36
	v_mov_b32_e32 v2, s37
	v_cmp_lt_u64_e32 vcc, s[6:7], v[1:2]
	s_mov_b64 s[26:27], 0
	s_cbranch_vccnz .LBB0_12
; %bb.11:
	v_cvt_f32_u32_e32 v1, s36
	s_sub_i32 s0, 0, s36
	v_rcp_iflag_f32_e32 v1, v1
	v_mul_f32_e32 v1, 0x4f7ffffe, v1
	v_cvt_u32_f32_e32 v1, v1
	v_readfirstlane_b32 s1, v1
	s_mul_i32 s0, s0, s1
	s_mul_hi_u32 s0, s1, s0
	s_add_i32 s1, s1, s0
	s_mul_hi_u32 s0, s6, s1
	s_mul_i32 s4, s0, s36
	s_sub_i32 s4, s6, s4
	s_add_i32 s1, s0, 1
	s_sub_i32 s5, s4, s36
	s_cmp_ge_u32 s4, s36
	s_cselect_b32 s0, s1, s0
	s_cselect_b32 s4, s5, s4
	s_add_i32 s1, s0, 1
	s_cmp_ge_u32 s4, s36
	s_cselect_b32 s26, s1, s0
.LBB0_12:
	s_lshl_b64 s[0:1], s[18:19], 3
	s_add_u32 s2, s2, s0
	s_addc_u32 s3, s3, s1
	s_load_dwordx2 s[2:3], s[2:3], 0x0
	v_mul_u32_u24_e32 v1, 0x199a, v0
	v_lshrrev_b32_e32 v9, 16, v1
	v_mul_lo_u16_e32 v1, 10, v9
	v_sub_u16_e32 v8, v0, v1
	s_waitcnt lgkmcnt(0)
	s_mul_i32 s3, s3, s26
	s_mul_hi_u32 s4, s2, s26
	s_mul_i32 s2, s2, s26
	s_add_i32 s3, s4, s3
	s_add_u32 s4, s2, s52
	s_addc_u32 s5, s3, s51
	s_add_u32 s6, s34, s0
	s_addc_u32 s7, s35, s1
	s_add_u32 s0, s50, 10
	v_mov_b32_e32 v1, s30
	s_addc_u32 s1, s33, 0
	v_mov_b32_e32 v2, s31
	v_cmp_le_u64_e32 vcc, s[0:1], v[1:2]
	s_movk_i32 s0, 0xf0
	v_cmp_gt_u32_e64 s[2:3], s0, v0
	s_and_b64 s[0:1], s[2:3], vcc
	v_add_u32_e32 v4, 24, v9
	v_add_u32_e32 v3, 48, v9
                                        ; implicit-def: $vgpr6
                                        ; implicit-def: $vgpr5
                                        ; implicit-def: $vgpr10
                                        ; implicit-def: $vgpr13
                                        ; implicit-def: $vgpr7
                                        ; implicit-def: $vgpr12
                                        ; implicit-def: $vgpr11
                                        ; implicit-def: $vgpr14
	s_and_saveexec_b64 s[18:19], s[0:1]
	s_cbranch_execz .LBB0_14
; %bb.13:
	v_mad_u64_u32 v[1:2], s[0:1], s22, v8, 0
	v_mad_u64_u32 v[5:6], s[0:1], s20, v9, 0
	;; [unrolled: 1-line block ×3, first 2 shown]
	v_mov_b32_e32 v2, v6
	v_mad_u64_u32 v[6:7], s[0:1], s21, v9, v[2:3]
	s_lshl_b64 s[0:1], s[4:5], 2
	s_add_u32 s27, s12, s0
	s_addc_u32 s0, s13, s1
	v_mov_b32_e32 v2, v10
	v_mov_b32_e32 v7, s0
	v_mad_u64_u32 v[10:11], s[0:1], s20, v4, 0
	v_lshlrev_b64 v[1:2], 2, v[1:2]
	v_add_u32_e32 v17, 0x48, v9
	v_add_co_u32_e64 v27, s[0:1], s27, v1
	v_addc_co_u32_e64 v28, s[0:1], v7, v2, s[0:1]
	v_lshlrev_b64 v[1:2], 2, v[5:6]
	v_mov_b32_e32 v5, v11
	v_mad_u64_u32 v[5:6], s[0:1], s21, v4, v[5:6]
	v_mad_u64_u32 v[6:7], s[0:1], s20, v3, 0
	v_add_co_u32_e64 v1, s[0:1], v27, v1
	v_mov_b32_e32 v11, v5
	v_mov_b32_e32 v5, v7
	v_addc_co_u32_e64 v2, s[0:1], v28, v2, s[0:1]
	v_mad_u64_u32 v[12:13], s[0:1], s21, v3, v[5:6]
	v_mad_u64_u32 v[13:14], s[0:1], s20, v17, 0
	v_lshlrev_b64 v[10:11], 2, v[10:11]
	v_mov_b32_e32 v7, v12
	v_add_co_u32_e64 v15, s[0:1], v27, v10
	v_lshlrev_b64 v[5:6], 2, v[6:7]
	v_mov_b32_e32 v7, v14
	v_addc_co_u32_e64 v16, s[0:1], v28, v11, s[0:1]
	v_mad_u64_u32 v[10:11], s[0:1], s21, v17, v[7:8]
	v_or_b32_e32 v19, 0x60, v9
	v_mad_u64_u32 v[11:12], s[0:1], s20, v19, 0
	v_add_co_u32_e64 v17, s[0:1], v27, v5
	v_mov_b32_e32 v14, v10
	v_mov_b32_e32 v7, v12
	v_addc_co_u32_e64 v18, s[0:1], v28, v6, s[0:1]
	v_lshlrev_b64 v[5:6], 2, v[13:14]
	v_mad_u64_u32 v[12:13], s[0:1], s21, v19, v[7:8]
	v_add_co_u32_e64 v19, s[0:1], v27, v5
	v_add_u32_e32 v7, 0x78, v9
	v_addc_co_u32_e64 v20, s[0:1], v28, v6, s[0:1]
	v_lshlrev_b64 v[5:6], 2, v[11:12]
	v_mad_u64_u32 v[10:11], s[0:1], s20, v7, 0
	v_add_co_u32_e64 v21, s[0:1], v27, v5
	v_mov_b32_e32 v5, v11
	v_addc_co_u32_e64 v22, s[0:1], v28, v6, s[0:1]
	v_mad_u64_u32 v[5:6], s[0:1], s21, v7, v[5:6]
	v_add_u32_e32 v12, 0x90, v9
	v_mad_u64_u32 v[6:7], s[0:1], s20, v12, 0
	v_mov_b32_e32 v11, v5
	v_lshlrev_b64 v[10:11], 2, v[10:11]
	v_mov_b32_e32 v5, v7
	v_mad_u64_u32 v[12:13], s[0:1], s21, v12, v[5:6]
	v_add_co_u32_e64 v23, s[0:1], v27, v10
	v_mov_b32_e32 v7, v12
	v_lshlrev_b64 v[5:6], 2, v[6:7]
	v_addc_co_u32_e64 v24, s[0:1], v28, v11, s[0:1]
	v_add_co_u32_e64 v25, s[0:1], v27, v5
	v_add_u32_e32 v7, 0xa8, v9
	v_addc_co_u32_e64 v26, s[0:1], v28, v6, s[0:1]
	v_mad_u64_u32 v[5:6], s[0:1], s20, v7, 0
	v_mad_u64_u32 v[6:7], s[0:1], s21, v7, v[6:7]
	v_lshlrev_b64 v[5:6], 2, v[5:6]
	v_add_co_u32_e64 v27, s[0:1], v27, v5
	v_addc_co_u32_e64 v28, s[0:1], v28, v6, s[0:1]
	global_load_dword v6, v[1:2], off
	global_load_dword v7, v[15:16], off
	;; [unrolled: 1-line block ×8, first 2 shown]
.LBB0_14:
	s_or_b64 exec, exec, s[18:19]
	v_mov_b32_e32 v2, s33
	v_add_co_u32_e64 v1, s[0:1], s50, v8
	v_addc_co_u32_e64 v2, s[0:1], 0, v2, s[0:1]
	v_cmp_gt_u64_e64 s[0:1], s[30:31], v[1:2]
	s_xor_b64 s[18:19], vcc, -1
	s_and_b64 s[30:31], s[2:3], s[0:1]
	s_and_b64 s[30:31], s[18:19], s[30:31]
	s_and_saveexec_b64 s[18:19], s[30:31]
	s_cbranch_execz .LBB0_16
; %bb.15:
	s_waitcnt vmcnt(3)
	v_mad_u64_u32 v[5:6], s[30:31], s22, v8, 0
	v_mad_u64_u32 v[10:11], s[30:31], s20, v9, 0
	v_mov_b32_e32 v2, v6
	v_mad_u64_u32 v[6:7], s[22:23], s23, v8, v[2:3]
	s_lshl_b64 s[4:5], s[4:5], 2
	v_mov_b32_e32 v2, v11
	s_add_u32 s12, s12, s4
	s_waitcnt vmcnt(2)
	v_mad_u64_u32 v[11:12], s[22:23], s21, v9, v[2:3]
	s_addc_u32 s4, s13, s5
	v_mov_b32_e32 v2, s4
	s_waitcnt vmcnt(1)
	v_mad_u64_u32 v[12:13], s[4:5], s20, v4, 0
	v_lshlrev_b64 v[5:6], 2, v[5:6]
	v_add_co_u32_e64 v28, s[4:5], s12, v5
	v_addc_co_u32_e64 v29, s[4:5], v2, v6, s[4:5]
	v_mov_b32_e32 v2, v13
	v_lshlrev_b64 v[5:6], 2, v[10:11]
	v_mad_u64_u32 v[10:11], s[4:5], s21, v4, v[2:3]
	s_waitcnt vmcnt(0)
	v_mad_u64_u32 v[14:15], s[4:5], s20, v3, 0
	v_mov_b32_e32 v13, v10
	v_add_co_u32_e64 v16, s[4:5], v28, v5
	v_lshlrev_b64 v[4:5], 2, v[12:13]
	v_mov_b32_e32 v2, v15
	v_add_u32_e32 v12, 0x48, v9
	v_addc_co_u32_e64 v17, s[4:5], v29, v6, s[4:5]
	v_mad_u64_u32 v[2:3], s[4:5], s21, v3, v[2:3]
	v_mad_u64_u32 v[6:7], s[4:5], s20, v12, 0
	v_add_co_u32_e64 v3, s[4:5], v28, v4
	v_mov_b32_e32 v15, v2
	v_mov_b32_e32 v2, v7
	v_addc_co_u32_e64 v4, s[4:5], v29, v5, s[4:5]
	v_lshlrev_b64 v[10:11], 2, v[14:15]
	v_mad_u64_u32 v[12:13], s[4:5], s21, v12, v[2:3]
	v_or_b32_e32 v15, 0x60, v9
	v_mad_u64_u32 v[13:14], s[4:5], s20, v15, 0
	v_add_co_u32_e64 v18, s[4:5], v28, v10
	v_mov_b32_e32 v7, v12
	v_mov_b32_e32 v2, v14
	v_addc_co_u32_e64 v19, s[4:5], v29, v11, s[4:5]
	v_lshlrev_b64 v[5:6], 2, v[6:7]
	v_mad_u64_u32 v[10:11], s[4:5], s21, v15, v[2:3]
	v_add_u32_e32 v7, 0x78, v9
	v_mad_u64_u32 v[11:12], s[4:5], s20, v7, 0
	v_add_co_u32_e64 v20, s[4:5], v28, v5
	v_mov_b32_e32 v14, v10
	v_mov_b32_e32 v2, v12
	v_addc_co_u32_e64 v21, s[4:5], v29, v6, s[4:5]
	v_lshlrev_b64 v[5:6], 2, v[13:14]
	v_mad_u64_u32 v[12:13], s[4:5], s21, v7, v[2:3]
	v_add_co_u32_e64 v22, s[4:5], v28, v5
	v_add_u32_e32 v7, 0x90, v9
	v_addc_co_u32_e64 v23, s[4:5], v29, v6, s[4:5]
	v_lshlrev_b64 v[5:6], 2, v[11:12]
	v_mad_u64_u32 v[10:11], s[4:5], s20, v7, 0
	v_add_co_u32_e64 v24, s[4:5], v28, v5
	v_mov_b32_e32 v2, v11
	v_addc_co_u32_e64 v25, s[4:5], v29, v6, s[4:5]
	v_mad_u64_u32 v[5:6], s[4:5], s21, v7, v[2:3]
	v_add_u32_e32 v12, 0xa8, v9
	v_mad_u64_u32 v[6:7], s[4:5], s20, v12, 0
	v_mov_b32_e32 v11, v5
	v_lshlrev_b64 v[10:11], 2, v[10:11]
	v_mov_b32_e32 v2, v7
	v_mad_u64_u32 v[12:13], s[4:5], s21, v12, v[2:3]
	v_add_co_u32_e64 v26, s[4:5], v28, v10
	v_mov_b32_e32 v7, v12
	v_lshlrev_b64 v[5:6], 2, v[6:7]
	v_addc_co_u32_e64 v27, s[4:5], v29, v11, s[4:5]
	v_add_co_u32_e64 v28, s[4:5], v28, v5
	v_addc_co_u32_e64 v29, s[4:5], v29, v6, s[4:5]
	global_load_dword v6, v[16:17], off
	global_load_dword v7, v[3:4], off
	;; [unrolled: 1-line block ×8, first 2 shown]
.LBB0_16:
	s_or_b64 exec, exec, s[18:19]
	s_waitcnt vmcnt(3)
	v_pk_add_f16 v2, v6, v5 neg_lo:[0,1] neg_hi:[0,1]
	s_waitcnt vmcnt(1)
	v_pk_add_f16 v4, v10, v13 neg_lo:[0,1] neg_hi:[0,1]
	s_mov_b32 s4, 0xffff
	v_pk_add_f16 v3, v2, v4 op_sel:[0,1] op_sel_hi:[1,0] neg_lo:[0,1] neg_hi:[0,1]
	v_pk_add_f16 v5, v2, v4 op_sel:[0,1] op_sel_hi:[1,0]
	v_pk_add_f16 v12, v7, v12 neg_lo:[0,1] neg_hi:[0,1]
	s_waitcnt vmcnt(0)
	v_pk_add_f16 v13, v11, v14 neg_lo:[0,1] neg_hi:[0,1]
	v_bfi_b32 v17, s4, v3, v5
	v_pk_fma_f16 v3, v2, 2.0, v17 op_sel_hi:[1,0,1] neg_lo:[0,0,1] neg_hi:[0,0,1]
	v_pk_fma_f16 v2, v6, 2.0, v2 op_sel_hi:[1,0,1] neg_lo:[0,0,1] neg_hi:[0,0,1]
	;; [unrolled: 1-line block ×5, first 2 shown]
	v_pk_add_f16 v10, v2, v4 neg_lo:[0,1] neg_hi:[0,1]
	v_pk_add_f16 v7, v6, v7 neg_lo:[0,1] neg_hi:[0,1]
	v_pk_fma_f16 v2, v2, 2.0, v10 op_sel_hi:[1,0,1] neg_lo:[0,0,1] neg_hi:[0,0,1]
	v_pk_fma_f16 v4, v6, 2.0, v7 op_sel_hi:[1,0,1] neg_lo:[0,0,1] neg_hi:[0,0,1]
	v_pk_add_f16 v5, v12, v13 op_sel:[0,1] op_sel_hi:[1,0] neg_lo:[0,1] neg_hi:[0,1]
	v_pk_add_f16 v14, v12, v13 op_sel:[0,1] op_sel_hi:[1,0]
	v_pk_add_f16 v4, v2, v4 neg_lo:[0,1] neg_hi:[0,1]
	v_bfi_b32 v16, s4, v5, v14
	v_lshrrev_b32_e32 v6, 16, v2
	v_lshrrev_b32_e32 v13, 16, v4
	v_pk_fma_f16 v5, v12, 2.0, v16 op_sel_hi:[1,0,1] neg_lo:[0,0,1] neg_hi:[0,0,1]
	v_fma_f16 v12, v6, 2.0, -v13
	v_pk_add_f16 v6, v10, v7 op_sel:[0,1] op_sel_hi:[1,0] neg_lo:[0,1] neg_hi:[0,1]
	v_pk_add_f16 v7, v10, v7 op_sel:[0,1] op_sel_hi:[1,0]
	s_movk_i32 s5, 0x39a8
	v_bfi_b32 v11, s4, v6, v7
	v_pk_mul_f16 v14, v5, s5 op_sel_hi:[1,0]
	v_pk_fma_f16 v15, v5, s5, v3 op_sel_hi:[1,0,1] neg_lo:[1,0,0] neg_hi:[1,0,0]
	v_pk_fma_f16 v6, v10, 2.0, v11 op_sel_hi:[1,0,1] neg_lo:[0,0,1] neg_hi:[0,0,1]
	v_pk_mul_f16 v7, v16, s5 op_sel_hi:[1,0]
	v_pk_fma_f16 v10, v16, s5, v17 op_sel_hi:[1,0,1]
	v_pk_add_f16 v5, v15, v14 op_sel:[0,1] op_sel_hi:[1,0] neg_lo:[0,1] neg_hi:[0,1]
	v_pk_add_f16 v15, v15, v14 op_sel:[0,1] op_sel_hi:[1,0]
	v_pk_add_f16 v16, v10, v7 op_sel:[0,1] op_sel_hi:[1,0] neg_lo:[0,1] neg_hi:[0,1]
	v_pk_add_f16 v7, v10, v7 op_sel:[0,1] op_sel_hi:[1,0]
	v_bfi_b32 v14, s4, v5, v15
	v_bfi_b32 v16, s4, v16, v7
	v_pk_fma_f16 v3, v3, 2.0, v14 op_sel_hi:[1,0,1] neg_lo:[0,0,1] neg_hi:[0,0,1]
	v_fma_f16 v2, v2, 2.0, -v4
	v_pk_fma_f16 v7, v17, 2.0, v16 op_sel_hi:[1,0,1] neg_lo:[0,0,1] neg_hi:[0,0,1]
	v_lshlrev_b32_e32 v10, 2, v8
	s_and_saveexec_b64 s[4:5], s[2:3]
	s_cbranch_execz .LBB0_18
; %bb.17:
	v_mul_u32_u24_e32 v18, 0x50, v9
	v_lshlrev_b32_e32 v17, 16, v12
	v_lshlrev_b32_e32 v18, 2, v18
	v_or_b32_sdwa v17, v17, v2 dst_sel:DWORD dst_unused:UNUSED_PAD src0_sel:DWORD src1_sel:WORD_0
	v_add3_u32 v18, 0, v18, v10
	ds_write2_b32 v18, v17, v3 offset1:10
	ds_write2_b32 v18, v6, v7 offset0:20 offset1:30
	ds_write2_b32 v18, v4, v14 offset0:40 offset1:50
	;; [unrolled: 1-line block ×3, first 2 shown]
.LBB0_18:
	s_or_b64 exec, exec, s[4:5]
	s_movk_i32 s2, 0x140
	v_cmp_gt_u32_e64 s[2:3], s2, v0
	v_lshrrev_b32_e32 v14, 16, v3
	v_lshrrev_b32_e32 v15, 16, v15
	;; [unrolled: 1-line block ×4, first 2 shown]
	v_mul_u32_u24_e32 v11, 40, v9
	s_waitcnt lgkmcnt(0)
	s_barrier
	s_and_saveexec_b64 s[4:5], s[2:3]
	s_cbranch_execz .LBB0_20
; %bb.19:
	v_add3_u32 v4, 0, v11, v10
	ds_read2st64_b32 v[2:3], v4 offset1:5
	ds_read2st64_b32 v[6:7], v4 offset0:10 offset1:15
	ds_read2st64_b32 v[4:5], v4 offset0:20 offset1:25
	s_waitcnt lgkmcnt(2)
	v_lshrrev_b32_e32 v14, 16, v3
	s_waitcnt lgkmcnt(1)
	v_lshrrev_b32_e32 v17, 16, v6
	v_lshrrev_b32_e32 v16, 16, v7
	s_waitcnt lgkmcnt(0)
	v_lshrrev_b32_e32 v13, 16, v4
	v_lshrrev_b32_e32 v15, 16, v5
	;; [unrolled: 1-line block ×3, first 2 shown]
.LBB0_20:
	s_or_b64 exec, exec, s[4:5]
	s_barrier
	s_and_saveexec_b64 s[4:5], s[2:3]
	s_cbranch_execz .LBB0_22
; %bb.21:
	v_and_b32_e32 v22, 7, v9
	v_mul_u32_u24_e32 v18, 5, v22
	v_lshlrev_b32_e32 v23, 2, v18
	global_load_dwordx4 v[18:21], v23, s[28:29]
	global_load_dword v24, v23, s[28:29] offset:16
	v_lshrrev_b32_e32 v23, 3, v9
	v_mul_u32_u24_e32 v23, 48, v23
	v_or_b32_e32 v22, v23, v22
	s_movk_i32 s2, 0x3aee
	s_mov_b32 s3, 0xbaee
	v_mul_u32_u24_e32 v22, 40, v22
	v_add3_u32 v22, 0, v22, v10
	s_waitcnt vmcnt(1)
	v_mul_f16_sdwa v23, v17, v19 dst_sel:DWORD dst_unused:UNUSED_PAD src0_sel:DWORD src1_sel:WORD_1
	v_mul_f16_sdwa v27, v16, v20 dst_sel:DWORD dst_unused:UNUSED_PAD src0_sel:DWORD src1_sel:WORD_1
	;; [unrolled: 1-line block ×4, first 2 shown]
	v_fma_f16 v6, v6, v19, -v23
	v_fma_f16 v23, v7, v20, -v27
	s_waitcnt vmcnt(0)
	v_mul_f16_sdwa v27, v15, v24 dst_sel:DWORD dst_unused:UNUSED_PAD src0_sel:DWORD src1_sel:WORD_1
	v_mul_f16_sdwa v7, v7, v20 dst_sel:DWORD dst_unused:UNUSED_PAD src0_sel:DWORD src1_sel:WORD_1
	v_fma_f16 v25, v4, v21, -v25
	v_fma_f16 v27, v5, v24, -v27
	v_mul_f16_sdwa v4, v4, v21 dst_sel:DWORD dst_unused:UNUSED_PAD src0_sel:DWORD src1_sel:WORD_1
	v_mul_f16_sdwa v5, v5, v24 dst_sel:DWORD dst_unused:UNUSED_PAD src0_sel:DWORD src1_sel:WORD_1
	v_fma_f16 v17, v17, v19, v26
	v_fma_f16 v4, v13, v21, v4
	v_mul_f16_sdwa v13, v14, v18 dst_sel:DWORD dst_unused:UNUSED_PAD src0_sel:DWORD src1_sel:WORD_1
	v_fma_f16 v7, v16, v20, v7
	v_mul_f16_sdwa v16, v3, v18 dst_sel:DWORD dst_unused:UNUSED_PAD src0_sel:DWORD src1_sel:WORD_1
	v_fma_f16 v5, v15, v24, v5
	v_fma_f16 v3, v3, v18, -v13
	v_fma_f16 v13, v14, v18, v16
	v_add_f16_e32 v15, v17, v4
	v_add_f16_e32 v16, v23, v27
	;; [unrolled: 1-line block ×3, first 2 shown]
	v_sub_f16_e32 v14, v6, v25
	v_sub_f16_e32 v18, v7, v5
	;; [unrolled: 1-line block ×3, first 2 shown]
	v_add_f16_e32 v24, v12, v17
	v_add_f16_e32 v7, v13, v7
	v_fma_f16 v12, v15, -0.5, v12
	v_add_f16_e32 v15, v6, v25
	v_add_f16_e32 v6, v2, v6
	;; [unrolled: 1-line block ×3, first 2 shown]
	v_fma_f16 v3, v16, -0.5, v3
	v_fma_f16 v13, v21, -0.5, v13
	v_sub_f16_e32 v17, v17, v4
	v_add_f16_e32 v4, v24, v4
	v_add_f16_e32 v5, v7, v5
	v_fma_f16 v2, v15, -0.5, v2
	v_add_f16_e32 v6, v6, v25
	v_add_f16_e32 v7, v23, v27
	v_fma_f16 v16, v18, s3, v3
	v_fma_f16 v21, v20, s2, v13
	;; [unrolled: 1-line block ×6, first 2 shown]
	v_sub_f16_e32 v14, v4, v5
	v_fma_f16 v18, v17, s3, v2
	v_fma_f16 v2, v17, s2, v2
	v_sub_f16_e32 v17, v6, v7
	v_add_f16_e32 v4, v4, v5
	v_add_f16_e32 v5, v6, v7
	v_mul_f16_e32 v7, 0xbaee, v3
	v_mul_f16_e32 v23, 0x3aee, v13
	v_mul_f16_e32 v6, -0.5, v21
	v_mul_f16_e32 v20, -0.5, v16
	v_fma_f16 v7, v13, 0.5, v7
	v_fma_f16 v3, v3, 0.5, v23
	v_fma_f16 v6, v16, s3, v6
	v_fma_f16 v13, v21, s2, v20
	v_sub_f16_e32 v16, v12, v7
	v_sub_f16_e32 v20, v2, v3
	v_add_f16_e32 v7, v12, v7
	v_add_f16_e32 v2, v2, v3
	v_pack_b32_f16 v4, v5, v4
	v_pack_b32_f16 v5, v17, v14
	v_sub_f16_e32 v14, v15, v6
	v_sub_f16_e32 v17, v18, v13
	v_add_f16_e32 v6, v15, v6
	v_add_f16_e32 v12, v18, v13
	v_pack_b32_f16 v2, v2, v7
	v_add_u32_e32 v19, 0x400, v22
	v_pack_b32_f16 v3, v12, v6
	v_pack_b32_f16 v6, v20, v16
	;; [unrolled: 1-line block ×3, first 2 shown]
	ds_write2_b32 v22, v4, v2 offset1:80
	ds_write2_b32 v22, v3, v5 offset0:160 offset1:240
	ds_write2_b32 v19, v6, v7 offset0:64 offset1:144
.LBB0_22:
	s_or_b64 exec, exec, s[4:5]
	s_or_b64 s[0:1], vcc, s[0:1]
	s_waitcnt lgkmcnt(0)
	s_barrier
	s_and_saveexec_b64 s[2:3], s[0:1]
	s_cbranch_execz .LBB0_24
; %bb.23:
	v_mul_lo_u16_e32 v2, 43, v9
	v_lshrrev_b16_e32 v2, 11, v2
	v_mul_lo_u16_e32 v2, 48, v2
	v_sub_u16_e32 v2, v9, v2
	v_and_b32_e32 v2, 0xff, v2
	v_mul_u32_u24_e32 v3, 3, v2
	v_lshlrev_b32_e32 v3, 2, v3
	global_load_dwordx3 v[12:14], v3, s[28:29] offset:160
	v_add_u32_e32 v3, 0x90, v2
	v_add_u32_e32 v4, 0x60, v2
	v_mul_lo_u32 v3, v1, v3
	v_add_u32_e32 v5, 48, v2
	v_mul_lo_u32 v4, v1, v4
	v_mul_lo_u32 v5, v1, v5
	v_mov_b32_e32 v6, 2
	v_lshlrev_b32_sdwa v7, v6, v3 dst_sel:DWORD dst_unused:UNUSED_PAD src0_sel:DWORD src1_sel:BYTE_0
	v_lshlrev_b32_sdwa v9, v6, v3 dst_sel:DWORD dst_unused:UNUSED_PAD src0_sel:DWORD src1_sel:BYTE_1
	v_lshlrev_b32_sdwa v15, v6, v4 dst_sel:DWORD dst_unused:UNUSED_PAD src0_sel:DWORD src1_sel:BYTE_0
	global_load_dword v16, v7, s[16:17]
	global_load_dword v17, v9, s[16:17] offset:1024
	v_lshlrev_b32_sdwa v7, v6, v4 dst_sel:DWORD dst_unused:UNUSED_PAD src0_sel:DWORD src1_sel:BYTE_1
	global_load_dword v9, v15, s[16:17]
	global_load_dword v18, v7, s[16:17] offset:1024
	v_lshlrev_b32_sdwa v15, v6, v5 dst_sel:DWORD dst_unused:UNUSED_PAD src0_sel:DWORD src1_sel:BYTE_2
	v_lshlrev_b32_sdwa v7, v6, v3 dst_sel:DWORD dst_unused:UNUSED_PAD src0_sel:DWORD src1_sel:BYTE_2
	;; [unrolled: 1-line block ×3, first 2 shown]
	global_load_dword v3, v15, s[16:17] offset:2048
	global_load_dword v19, v4, s[16:17] offset:2048
	;; [unrolled: 1-line block ×3, first 2 shown]
	v_lshlrev_b32_sdwa v4, v6, v5 dst_sel:DWORD dst_unused:UNUSED_PAD src0_sel:DWORD src1_sel:BYTE_0
	global_load_dword v4, v4, s[16:17]
	v_lshlrev_b32_sdwa v5, v6, v5 dst_sel:DWORD dst_unused:UNUSED_PAD src0_sel:DWORD src1_sel:BYTE_1
	global_load_dword v5, v5, s[16:17] offset:1024
	v_mul_lo_u32 v1, v1, v2
	v_add3_u32 v7, 0, v11, v10
	s_load_dwordx2 s[0:1], s[6:7], 0x0
	v_lshlrev_b32_sdwa v10, v6, v1 dst_sel:DWORD dst_unused:UNUSED_PAD src0_sel:DWORD src1_sel:BYTE_2
	v_lshlrev_b32_sdwa v11, v6, v1 dst_sel:DWORD dst_unused:UNUSED_PAD src0_sel:DWORD src1_sel:BYTE_0
	v_lshlrev_b32_sdwa v1, v6, v1 dst_sel:DWORD dst_unused:UNUSED_PAD src0_sel:DWORD src1_sel:BYTE_1
	global_load_dword v6, v10, s[16:17] offset:2048
	global_load_dword v15, v11, s[16:17]
	global_load_dword v21, v1, s[16:17] offset:1024
	ds_read_b32 v1, v7
	ds_read_b32 v10, v7 offset:5760
	ds_read_b32 v11, v7 offset:3840
	;; [unrolled: 1-line block ×3, first 2 shown]
	s_waitcnt lgkmcnt(0)
	s_mul_i32 s1, s1, s26
	v_lshrrev_b32_e32 v22, 16, v1
	v_lshrrev_b32_e32 v25, 16, v10
	;; [unrolled: 1-line block ×4, first 2 shown]
	s_mul_hi_u32 s2, s0, s26
	s_add_i32 s1, s2, s1
	s_mul_i32 s0, s0, s26
	s_lshl_b64 s[0:1], s[0:1], 2
	s_waitcnt vmcnt(12)
	v_mul_f16_sdwa v26, v13, v11 dst_sel:DWORD dst_unused:UNUSED_PAD src0_sel:WORD_1 src1_sel:DWORD
	v_fma_f16 v26, v13, v23, v26
	v_mul_f16_sdwa v23, v13, v23 dst_sel:DWORD dst_unused:UNUSED_PAD src0_sel:WORD_1 src1_sel:DWORD
	v_mul_f16_sdwa v27, v12, v24 dst_sel:DWORD dst_unused:UNUSED_PAD src0_sel:WORD_1 src1_sel:DWORD
	v_fma_f16 v11, v13, v11, -v23
	v_mul_f16_sdwa v13, v14, v25 dst_sel:DWORD dst_unused:UNUSED_PAD src0_sel:WORD_1 src1_sel:DWORD
	v_fma_f16 v23, v12, v7, -v27
	;; [unrolled: 2-line block ×3, first 2 shown]
	v_mul_f16_sdwa v10, v14, v10 dst_sel:DWORD dst_unused:UNUSED_PAD src0_sel:WORD_1 src1_sel:DWORD
	v_fma_f16 v7, v12, v24, v7
	v_fma_f16 v10, v14, v25, v10
	v_sub_f16_e32 v12, v22, v26
	v_sub_f16_e32 v13, v23, v13
	;; [unrolled: 1-line block ×4, first 2 shown]
	v_add_f16_e32 v14, v12, v13
	v_sub_f16_e32 v24, v11, v10
	v_fma_f16 v7, v7, 2.0, -v10
	v_fma_f16 v10, v23, 2.0, -v13
	s_waitcnt vmcnt(11)
	v_lshrrev_b32_e32 v13, 16, v16
	s_waitcnt vmcnt(10)
	v_mul_f16_sdwa v23, v16, v17 dst_sel:DWORD dst_unused:UNUSED_PAD src0_sel:DWORD src1_sel:WORD_1
	s_waitcnt vmcnt(9)
	v_lshrrev_b32_e32 v25, 16, v9
	s_waitcnt vmcnt(8)
	v_mul_f16_sdwa v26, v9, v18 dst_sel:DWORD dst_unused:UNUSED_PAD src0_sel:DWORD src1_sel:WORD_1
	v_mul_f16_sdwa v27, v13, v17 dst_sel:DWORD dst_unused:UNUSED_PAD src0_sel:DWORD src1_sel:WORD_1
	v_fma_f16 v13, v13, v17, v23
	v_mul_f16_sdwa v23, v25, v18 dst_sel:DWORD dst_unused:UNUSED_PAD src0_sel:DWORD src1_sel:WORD_1
	v_fma_f16 v25, v25, v18, v26
	v_fma_f16 v16, v16, v17, -v27
	s_waitcnt vmcnt(5)
	v_mul_f16_sdwa v17, v13, v20 dst_sel:DWORD dst_unused:UNUSED_PAD src0_sel:DWORD src1_sel:WORD_1
	v_fma_f16 v9, v9, v18, -v23
	v_mul_f16_sdwa v18, v25, v19 dst_sel:DWORD dst_unused:UNUSED_PAD src0_sel:DWORD src1_sel:WORD_1
	v_fma_f16 v17, v20, v16, -v17
	v_mul_f16_sdwa v16, v16, v20 dst_sel:DWORD dst_unused:UNUSED_PAD src0_sel:DWORD src1_sel:WORD_1
	v_fma_f16 v22, v22, 2.0, -v12
	v_fma_f16 v1, v1, 2.0, -v11
	v_fma_f16 v18, v19, v9, -v18
	v_fma_f16 v13, v20, v13, v16
	v_mul_f16_sdwa v9, v9, v19 dst_sel:DWORD dst_unused:UNUSED_PAD src0_sel:DWORD src1_sel:WORD_1
	v_sub_f16_e32 v7, v22, v7
	v_sub_f16_e32 v10, v1, v10
	v_mul_f16_e32 v16, v24, v13
	v_mul_f16_e32 v13, v14, v13
	v_fma_f16 v9, v19, v25, v9
	v_fma_f16 v16, v14, v17, v16
	v_fma_f16 v13, v24, v17, -v13
	v_mul_f16_e32 v17, v10, v9
	v_mul_f16_e32 v9, v7, v9
	v_fma_f16 v12, v12, 2.0, -v14
	s_waitcnt vmcnt(4)
	v_lshrrev_b32_e32 v14, 16, v4
	v_fma_f16 v17, v7, v18, v17
	v_fma_f16 v9, v10, v18, -v9
	s_waitcnt vmcnt(3)
	v_mul_f16_sdwa v18, v14, v5 dst_sel:DWORD dst_unused:UNUSED_PAD src0_sel:DWORD src1_sel:WORD_1
	v_fma_f16 v18, v4, v5, -v18
	v_mul_f16_sdwa v4, v4, v5 dst_sel:DWORD dst_unused:UNUSED_PAD src0_sel:DWORD src1_sel:WORD_1
	v_fma_f16 v4, v14, v5, v4
	v_mul_f16_sdwa v5, v4, v3 dst_sel:DWORD dst_unused:UNUSED_PAD src0_sel:DWORD src1_sel:WORD_1
	v_mul_f16_sdwa v14, v18, v3 dst_sel:DWORD dst_unused:UNUSED_PAD src0_sel:DWORD src1_sel:WORD_1
	v_fma_f16 v5, v3, v18, -v5
	v_fma_f16 v11, v11, 2.0, -v24
	v_fma_f16 v3, v3, v4, v14
	v_mul_f16_e32 v4, v11, v3
	v_mul_f16_e32 v3, v12, v3
	v_fma_f16 v11, v11, v5, -v3
	s_waitcnt vmcnt(1)
	v_lshrrev_b32_e32 v3, 16, v15
	v_fma_f16 v14, v12, v5, v4
	s_waitcnt vmcnt(0)
	v_mul_f16_sdwa v4, v3, v21 dst_sel:DWORD dst_unused:UNUSED_PAD src0_sel:DWORD src1_sel:WORD_1
	v_mul_f16_sdwa v5, v15, v21 dst_sel:DWORD dst_unused:UNUSED_PAD src0_sel:DWORD src1_sel:WORD_1
	v_fma_f16 v4, v15, v21, -v4
	v_fma_f16 v3, v3, v21, v5
	v_mul_f16_sdwa v5, v3, v6 dst_sel:DWORD dst_unused:UNUSED_PAD src0_sel:DWORD src1_sel:WORD_1
	v_fma_f16 v10, v1, 2.0, -v10
	v_mul_f16_sdwa v1, v4, v6 dst_sel:DWORD dst_unused:UNUSED_PAD src0_sel:DWORD src1_sel:WORD_1
	v_fma_f16 v12, v6, v4, -v5
	v_fma_f16 v6, v6, v3, v1
	v_mad_u64_u32 v[3:4], s[2:3], s10, v8, 0
	s_movk_i32 s2, 0x223
	v_mul_u32_u24_sdwa v0, v0, s2 dst_sel:DWORD dst_unused:UNUSED_PAD src0_sel:WORD_0 src1_sel:DWORD
	v_lshrrev_b32_e32 v0, 18, v0
	v_mul_lo_u16_e32 v0, 0xc0, v0
	v_fma_f16 v7, v22, 2.0, -v7
	v_mul_f16_e32 v1, v10, v6
	v_or_b32_e32 v18, v2, v0
	v_fma_f16 v15, v7, v12, v1
	v_mad_u64_u32 v[0:1], s[2:3], s8, v18, 0
	v_mov_b32_e32 v2, v4
	v_mad_u64_u32 v[4:5], s[2:3], s11, v8, v[2:3]
	v_mad_u64_u32 v[1:2], s[2:3], s9, v18, v[1:2]
	s_add_u32 s2, s14, s0
	s_addc_u32 s3, s15, s1
	s_lshl_b64 s[0:1], s[24:25], 2
	s_add_u32 s2, s2, s0
	v_mul_f16_e32 v2, v7, v6
	s_addc_u32 s0, s3, s1
	v_add_u32_e32 v8, 48, v18
	v_fma_f16 v6, v10, v12, -v2
	v_lshlrev_b64 v[2:3], 2, v[3:4]
	v_mov_b32_e32 v7, s0
	v_mad_u64_u32 v[4:5], s[0:1], s8, v8, 0
	v_add_co_u32_e32 v10, vcc, s2, v2
	v_mov_b32_e32 v2, v5
	v_addc_co_u32_e32 v7, vcc, v7, v3, vcc
	v_mad_u64_u32 v[2:3], s[0:1], s9, v8, v[2:3]
	v_lshlrev_b64 v[0:1], 2, v[0:1]
	v_pack_b32_f16 v3, v6, v15
	v_add_co_u32_e32 v0, vcc, v10, v0
	v_addc_co_u32_e32 v1, vcc, v7, v1, vcc
	v_mov_b32_e32 v5, v2
	global_store_dword v[0:1], v3, off
	v_lshlrev_b64 v[0:1], 2, v[4:5]
	v_add_u32_e32 v4, 0x60, v18
	v_mad_u64_u32 v[2:3], s[0:1], s8, v4, 0
	v_add_u32_e32 v8, 0x90, v18
	v_add_co_u32_e32 v0, vcc, v10, v0
	v_mad_u64_u32 v[3:4], s[0:1], s9, v4, v[3:4]
	v_mad_u64_u32 v[4:5], s[0:1], s8, v8, 0
	v_addc_co_u32_e32 v1, vcc, v7, v1, vcc
	v_pack_b32_f16 v6, v11, v14
	global_store_dword v[0:1], v6, off
	v_lshlrev_b64 v[0:1], 2, v[2:3]
	v_mov_b32_e32 v2, v5
	v_mad_u64_u32 v[2:3], s[0:1], s9, v8, v[2:3]
	v_add_co_u32_e32 v0, vcc, v10, v0
	v_addc_co_u32_e32 v1, vcc, v7, v1, vcc
	v_pack_b32_f16 v3, v9, v17
	v_mov_b32_e32 v5, v2
	global_store_dword v[0:1], v3, off
	v_lshlrev_b64 v[0:1], 2, v[4:5]
	v_pack_b32_f16 v2, v13, v16
	v_add_co_u32_e32 v0, vcc, v10, v0
	v_addc_co_u32_e32 v1, vcc, v7, v1, vcc
	global_store_dword v[0:1], v2, off
.LBB0_24:
	s_endpgm
	.section	.rodata,"a",@progbits
	.p2align	6, 0x0
	.amdhsa_kernel fft_rtc_fwd_len192_factors_8_6_4_wgs_480_tpt_48_half_op_CI_CI_sbcc_twdbase8_3step_dirReg
		.amdhsa_group_segment_fixed_size 0
		.amdhsa_private_segment_fixed_size 0
		.amdhsa_kernarg_size 112
		.amdhsa_user_sgpr_count 6
		.amdhsa_user_sgpr_private_segment_buffer 1
		.amdhsa_user_sgpr_dispatch_ptr 0
		.amdhsa_user_sgpr_queue_ptr 0
		.amdhsa_user_sgpr_kernarg_segment_ptr 1
		.amdhsa_user_sgpr_dispatch_id 0
		.amdhsa_user_sgpr_flat_scratch_init 0
		.amdhsa_user_sgpr_private_segment_size 0
		.amdhsa_uses_dynamic_stack 0
		.amdhsa_system_sgpr_private_segment_wavefront_offset 0
		.amdhsa_system_sgpr_workgroup_id_x 1
		.amdhsa_system_sgpr_workgroup_id_y 0
		.amdhsa_system_sgpr_workgroup_id_z 0
		.amdhsa_system_sgpr_workgroup_info 0
		.amdhsa_system_vgpr_workitem_id 0
		.amdhsa_next_free_vgpr 30
		.amdhsa_next_free_sgpr 57
		.amdhsa_reserve_vcc 1
		.amdhsa_reserve_flat_scratch 0
		.amdhsa_float_round_mode_32 0
		.amdhsa_float_round_mode_16_64 0
		.amdhsa_float_denorm_mode_32 3
		.amdhsa_float_denorm_mode_16_64 3
		.amdhsa_dx10_clamp 1
		.amdhsa_ieee_mode 1
		.amdhsa_fp16_overflow 0
		.amdhsa_exception_fp_ieee_invalid_op 0
		.amdhsa_exception_fp_denorm_src 0
		.amdhsa_exception_fp_ieee_div_zero 0
		.amdhsa_exception_fp_ieee_overflow 0
		.amdhsa_exception_fp_ieee_underflow 0
		.amdhsa_exception_fp_ieee_inexact 0
		.amdhsa_exception_int_div_zero 0
	.end_amdhsa_kernel
	.text
.Lfunc_end0:
	.size	fft_rtc_fwd_len192_factors_8_6_4_wgs_480_tpt_48_half_op_CI_CI_sbcc_twdbase8_3step_dirReg, .Lfunc_end0-fft_rtc_fwd_len192_factors_8_6_4_wgs_480_tpt_48_half_op_CI_CI_sbcc_twdbase8_3step_dirReg
                                        ; -- End function
	.section	.AMDGPU.csdata,"",@progbits
; Kernel info:
; codeLenInByte = 5276
; NumSgprs: 61
; NumVgprs: 30
; ScratchSize: 0
; MemoryBound: 0
; FloatMode: 240
; IeeeMode: 1
; LDSByteSize: 0 bytes/workgroup (compile time only)
; SGPRBlocks: 7
; VGPRBlocks: 7
; NumSGPRsForWavesPerEU: 61
; NumVGPRsForWavesPerEU: 30
; Occupancy: 8
; WaveLimiterHint : 1
; COMPUTE_PGM_RSRC2:SCRATCH_EN: 0
; COMPUTE_PGM_RSRC2:USER_SGPR: 6
; COMPUTE_PGM_RSRC2:TRAP_HANDLER: 0
; COMPUTE_PGM_RSRC2:TGID_X_EN: 1
; COMPUTE_PGM_RSRC2:TGID_Y_EN: 0
; COMPUTE_PGM_RSRC2:TGID_Z_EN: 0
; COMPUTE_PGM_RSRC2:TIDIG_COMP_CNT: 0
	.type	__hip_cuid_d008db17e21c89e5,@object ; @__hip_cuid_d008db17e21c89e5
	.section	.bss,"aw",@nobits
	.globl	__hip_cuid_d008db17e21c89e5
__hip_cuid_d008db17e21c89e5:
	.byte	0                               ; 0x0
	.size	__hip_cuid_d008db17e21c89e5, 1

	.ident	"AMD clang version 19.0.0git (https://github.com/RadeonOpenCompute/llvm-project roc-6.4.0 25133 c7fe45cf4b819c5991fe208aaa96edf142730f1d)"
	.section	".note.GNU-stack","",@progbits
	.addrsig
	.addrsig_sym __hip_cuid_d008db17e21c89e5
	.amdgpu_metadata
---
amdhsa.kernels:
  - .args:
      - .actual_access:  read_only
        .address_space:  global
        .offset:         0
        .size:           8
        .value_kind:     global_buffer
      - .address_space:  global
        .offset:         8
        .size:           8
        .value_kind:     global_buffer
      - .offset:         16
        .size:           8
        .value_kind:     by_value
      - .actual_access:  read_only
        .address_space:  global
        .offset:         24
        .size:           8
        .value_kind:     global_buffer
      - .actual_access:  read_only
        .address_space:  global
        .offset:         32
        .size:           8
        .value_kind:     global_buffer
      - .actual_access:  read_only
        .address_space:  global
        .offset:         40
        .size:           8
        .value_kind:     global_buffer
      - .offset:         48
        .size:           8
        .value_kind:     by_value
      - .actual_access:  read_only
        .address_space:  global
        .offset:         56
        .size:           8
        .value_kind:     global_buffer
      - .actual_access:  read_only
        .address_space:  global
        .offset:         64
        .size:           8
        .value_kind:     global_buffer
      - .offset:         72
        .size:           4
        .value_kind:     by_value
      - .actual_access:  read_only
        .address_space:  global
        .offset:         80
        .size:           8
        .value_kind:     global_buffer
      - .actual_access:  read_only
        .address_space:  global
        .offset:         88
        .size:           8
        .value_kind:     global_buffer
      - .actual_access:  read_only
        .address_space:  global
        .offset:         96
        .size:           8
        .value_kind:     global_buffer
      - .actual_access:  write_only
        .address_space:  global
        .offset:         104
        .size:           8
        .value_kind:     global_buffer
    .group_segment_fixed_size: 0
    .kernarg_segment_align: 8
    .kernarg_segment_size: 112
    .language:       OpenCL C
    .language_version:
      - 2
      - 0
    .max_flat_workgroup_size: 480
    .name:           fft_rtc_fwd_len192_factors_8_6_4_wgs_480_tpt_48_half_op_CI_CI_sbcc_twdbase8_3step_dirReg
    .private_segment_fixed_size: 0
    .sgpr_count:     61
    .sgpr_spill_count: 0
    .symbol:         fft_rtc_fwd_len192_factors_8_6_4_wgs_480_tpt_48_half_op_CI_CI_sbcc_twdbase8_3step_dirReg.kd
    .uniform_work_group_size: 1
    .uses_dynamic_stack: false
    .vgpr_count:     30
    .vgpr_spill_count: 0
    .wavefront_size: 64
amdhsa.target:   amdgcn-amd-amdhsa--gfx906
amdhsa.version:
  - 1
  - 2
...

	.end_amdgpu_metadata
